;; amdgpu-corpus repo=ROCm/rocFFT kind=compiled arch=gfx1030 opt=O3
	.text
	.amdgcn_target "amdgcn-amd-amdhsa--gfx1030"
	.amdhsa_code_object_version 6
	.protected	fft_rtc_back_len336_factors_6_7_8_wgs_336_tpt_56_half_ip_CI_sbcc_dirReg_intrinsicRead ; -- Begin function fft_rtc_back_len336_factors_6_7_8_wgs_336_tpt_56_half_ip_CI_sbcc_dirReg_intrinsicRead
	.globl	fft_rtc_back_len336_factors_6_7_8_wgs_336_tpt_56_half_ip_CI_sbcc_dirReg_intrinsicRead
	.p2align	8
	.type	fft_rtc_back_len336_factors_6_7_8_wgs_336_tpt_56_half_ip_CI_sbcc_dirReg_intrinsicRead,@function
fft_rtc_back_len336_factors_6_7_8_wgs_336_tpt_56_half_ip_CI_sbcc_dirReg_intrinsicRead: ; @fft_rtc_back_len336_factors_6_7_8_wgs_336_tpt_56_half_ip_CI_sbcc_dirReg_intrinsicRead
; %bb.0:
	s_load_dwordx4 s[0:3], s[4:5], 0x18
	s_waitcnt lgkmcnt(0)
	s_load_dwordx2 s[14:15], s[0:1], 0x8
	s_waitcnt lgkmcnt(0)
	s_add_u32 s7, s14, -1
	s_addc_u32 s8, s15, -1
	s_add_u32 s9, 0, 0xaaa80000
	s_addc_u32 s10, 0, 0xaa
	s_mul_hi_u32 s12, s9, -6
	s_add_i32 s10, s10, 0x2aaaaa00
	s_sub_i32 s12, s12, s9
	s_mul_i32 s16, s10, -6
	s_mul_i32 s11, s9, -6
	s_add_i32 s12, s12, s16
	s_mul_hi_u32 s13, s9, s11
	s_mul_i32 s18, s9, s12
	s_mul_hi_u32 s16, s9, s12
	s_mul_hi_u32 s17, s10, s11
	s_mul_i32 s11, s10, s11
	s_add_u32 s13, s13, s18
	s_addc_u32 s16, 0, s16
	s_mul_hi_u32 s19, s10, s12
	s_add_u32 s11, s13, s11
	s_mul_i32 s12, s10, s12
	s_addc_u32 s11, s16, s17
	s_addc_u32 s13, s19, 0
	s_add_u32 s11, s11, s12
	v_add_co_u32 v1, s9, s9, s11
	s_addc_u32 s11, 0, s13
	s_cmp_lg_u32 s9, 0
	s_addc_u32 s9, s10, s11
	v_readfirstlane_b32 s10, v1
	s_mul_i32 s12, s7, s9
	s_mul_hi_u32 s11, s7, s9
	s_mul_hi_u32 s13, s8, s9
	s_mul_i32 s9, s8, s9
	s_mul_hi_u32 s16, s7, s10
	s_mul_hi_u32 s17, s8, s10
	s_mul_i32 s10, s8, s10
	s_add_u32 s12, s16, s12
	s_addc_u32 s11, 0, s11
	s_add_u32 s10, s12, s10
	s_addc_u32 s10, s11, s17
	s_addc_u32 s11, s13, 0
	s_add_u32 s9, s10, s9
	s_addc_u32 s10, 0, s11
	s_mul_i32 s12, s9, 6
	s_add_u32 s11, s9, 1
	v_sub_co_u32 v1, s7, s7, s12
	s_mul_hi_u32 s12, s9, 6
	s_addc_u32 s13, s10, 0
	s_mul_i32 s16, s10, 6
	v_sub_co_u32 v2, s17, v1, 6
	s_add_u32 s18, s9, 2
	s_addc_u32 s19, s10, 0
	s_add_i32 s12, s12, s16
	s_cmp_lg_u32 s7, 0
	v_readfirstlane_b32 s7, v2
	s_subb_u32 s8, s8, s12
	s_cmp_lg_u32 s17, 0
	s_subb_u32 s12, s8, 0
	s_cmp_gt_u32 s7, 5
	s_cselect_b32 s7, -1, 0
	s_cmp_eq_u32 s12, 0
	v_readfirstlane_b32 s12, v1
	s_cselect_b32 s7, s7, -1
	s_cmp_lg_u32 s7, 0
	s_cselect_b32 s11, s18, s11
	s_cselect_b32 s13, s19, s13
	s_cmp_gt_u32 s12, 5
	s_mov_b64 s[18:19], 0
	s_cselect_b32 s7, -1, 0
	s_cmp_eq_u32 s8, 0
	s_cselect_b32 s7, s7, -1
	s_cmp_lg_u32 s7, 0
	s_mov_b32 s7, 0
	s_cselect_b32 s8, s11, s9
	s_cselect_b32 s9, s13, s10
	s_add_u32 s16, s8, 1
	s_addc_u32 s17, s9, 0
	v_cmp_lt_u64_e64 s8, s[6:7], s[16:17]
	s_and_b32 vcc_lo, exec_lo, s8
	s_cbranch_vccnz .LBB0_2
; %bb.1:
	v_cvt_f32_u32_e32 v1, s16
	s_sub_i32 s9, 0, s16
	s_mov_b32 s19, s7
	v_rcp_iflag_f32_e32 v1, v1
	v_mul_f32_e32 v1, 0x4f7ffffe, v1
	v_cvt_u32_f32_e32 v1, v1
	v_readfirstlane_b32 s8, v1
	s_mul_i32 s9, s9, s8
	s_mul_hi_u32 s9, s8, s9
	s_add_i32 s8, s8, s9
	s_mul_hi_u32 s8, s6, s8
	s_mul_i32 s9, s8, s16
	s_add_i32 s10, s8, 1
	s_sub_i32 s9, s6, s9
	s_sub_i32 s11, s9, s16
	s_cmp_ge_u32 s9, s16
	s_cselect_b32 s8, s10, s8
	s_cselect_b32 s9, s11, s9
	s_add_i32 s10, s8, 1
	s_cmp_ge_u32 s9, s16
	s_cselect_b32 s18, s10, s8
.LBB0_2:
	s_load_dwordx4 s[8:11], s[2:3], 0x0
	s_clause 0x2
	s_load_dwordx2 s[20:21], s[4:5], 0x10
	s_load_dwordx2 s[12:13], s[4:5], 0x58
	;; [unrolled: 1-line block ×3, first 2 shown]
	s_mul_i32 s22, s18, s17
	s_mul_hi_u32 s23, s18, s16
	s_mul_i32 s24, s18, s16
	s_add_i32 s23, s23, s22
	s_sub_u32 s34, s6, s24
	s_subb_u32 s22, 0, s23
	s_mul_hi_u32 s33, s34, 6
	s_mul_i32 s22, s22, 6
	s_mul_i32 s34, s34, 6
	s_add_i32 s33, s33, s22
	s_waitcnt lgkmcnt(0)
	s_mul_i32 s22, s10, s33
	v_cmp_lt_u64_e64 s24, s[20:21], 3
	s_mul_hi_u32 s23, s10, s34
	s_mul_i32 s36, s10, s34
	s_add_i32 s22, s23, s22
	s_mul_i32 s23, s11, s34
	s_add_i32 s35, s22, s23
	s_and_b32 vcc_lo, exec_lo, s24
	s_cbranch_vccnz .LBB0_12
; %bb.3:
	s_add_u32 s22, s2, 16
	s_addc_u32 s23, s3, 0
	s_add_u32 s0, s0, 16
	s_addc_u32 s1, s1, 0
	s_mov_b64 s[24:25], 2
	s_mov_b32 s26, 0
.LBB0_4:                                ; =>This Inner Loop Header: Depth=1
	s_load_dwordx2 s[28:29], s[0:1], 0x0
	s_waitcnt lgkmcnt(0)
	s_or_b64 s[30:31], s[18:19], s[28:29]
	s_mov_b32 s27, s31
                                        ; implicit-def: $sgpr30_sgpr31
	s_cmp_lg_u64 s[26:27], 0
	s_mov_b32 s27, -1
	s_cbranch_scc0 .LBB0_6
; %bb.5:                                ;   in Loop: Header=BB0_4 Depth=1
	v_cvt_f32_u32_e32 v1, s28
	v_cvt_f32_u32_e32 v2, s29
	s_sub_u32 s31, 0, s28
	s_subb_u32 s37, 0, s29
	v_fmac_f32_e32 v1, 0x4f800000, v2
	v_rcp_f32_e32 v1, v1
	v_mul_f32_e32 v1, 0x5f7ffffc, v1
	v_mul_f32_e32 v2, 0x2f800000, v1
	v_trunc_f32_e32 v2, v2
	v_fmac_f32_e32 v1, 0xcf800000, v2
	v_cvt_u32_f32_e32 v2, v2
	v_cvt_u32_f32_e32 v1, v1
	v_readfirstlane_b32 s27, v2
	v_readfirstlane_b32 s30, v1
	s_mul_i32 s38, s31, s27
	s_mul_hi_u32 s40, s31, s30
	s_mul_i32 s39, s37, s30
	s_add_i32 s38, s40, s38
	s_mul_i32 s41, s31, s30
	s_add_i32 s38, s38, s39
	s_mul_hi_u32 s40, s30, s41
	s_mul_hi_u32 s42, s27, s41
	s_mul_i32 s39, s27, s41
	s_mul_hi_u32 s41, s30, s38
	s_mul_i32 s30, s30, s38
	s_mul_hi_u32 s43, s27, s38
	s_add_u32 s30, s40, s30
	s_addc_u32 s40, 0, s41
	s_add_u32 s30, s30, s39
	s_mul_i32 s38, s27, s38
	s_addc_u32 s30, s40, s42
	s_addc_u32 s39, s43, 0
	s_add_u32 s30, s30, s38
	s_addc_u32 s38, 0, s39
	v_add_co_u32 v1, s30, v1, s30
	s_cmp_lg_u32 s30, 0
	s_addc_u32 s27, s27, s38
	v_readfirstlane_b32 s30, v1
	s_mul_i32 s38, s31, s27
	s_mul_hi_u32 s39, s31, s30
	s_mul_i32 s37, s37, s30
	s_add_i32 s38, s39, s38
	s_mul_i32 s31, s31, s30
	s_add_i32 s38, s38, s37
	s_mul_hi_u32 s39, s27, s31
	s_mul_i32 s40, s27, s31
	s_mul_hi_u32 s31, s30, s31
	s_mul_hi_u32 s41, s30, s38
	s_mul_i32 s30, s30, s38
	s_mul_hi_u32 s37, s27, s38
	s_add_u32 s30, s31, s30
	s_addc_u32 s31, 0, s41
	s_add_u32 s30, s30, s40
	s_mul_i32 s38, s27, s38
	s_addc_u32 s30, s31, s39
	s_addc_u32 s31, s37, 0
	s_add_u32 s30, s30, s38
	s_addc_u32 s31, 0, s31
	v_add_co_u32 v1, s30, v1, s30
	s_cmp_lg_u32 s30, 0
	s_addc_u32 s27, s27, s31
	v_readfirstlane_b32 s30, v1
	s_mul_i32 s37, s18, s27
	s_mul_hi_u32 s31, s18, s27
	s_mul_hi_u32 s38, s19, s27
	s_mul_i32 s27, s19, s27
	s_mul_hi_u32 s39, s18, s30
	s_mul_hi_u32 s40, s19, s30
	s_mul_i32 s30, s19, s30
	s_add_u32 s37, s39, s37
	s_addc_u32 s31, 0, s31
	s_add_u32 s30, s37, s30
	s_addc_u32 s30, s31, s40
	s_addc_u32 s31, s38, 0
	s_add_u32 s30, s30, s27
	s_addc_u32 s31, 0, s31
	s_mul_hi_u32 s27, s28, s30
	s_mul_i32 s38, s28, s31
	s_mul_i32 s39, s28, s30
	s_add_i32 s27, s27, s38
	v_sub_co_u32 v1, s38, s18, s39
	s_mul_i32 s37, s29, s30
	s_add_i32 s27, s27, s37
	v_sub_co_u32 v2, s39, v1, s28
	s_sub_i32 s37, s19, s27
	s_cmp_lg_u32 s38, 0
	s_subb_u32 s37, s37, s29
	s_cmp_lg_u32 s39, 0
	v_readfirstlane_b32 s39, v2
	s_subb_u32 s37, s37, 0
	s_cmp_ge_u32 s37, s29
	s_cselect_b32 s40, -1, 0
	s_cmp_ge_u32 s39, s28
	s_cselect_b32 s39, -1, 0
	s_cmp_eq_u32 s37, s29
	s_cselect_b32 s37, s39, s40
	s_add_u32 s39, s30, 1
	s_addc_u32 s40, s31, 0
	s_add_u32 s41, s30, 2
	s_addc_u32 s42, s31, 0
	s_cmp_lg_u32 s37, 0
	s_cselect_b32 s37, s41, s39
	s_cselect_b32 s39, s42, s40
	s_cmp_lg_u32 s38, 0
	v_readfirstlane_b32 s38, v1
	s_subb_u32 s27, s19, s27
	s_cmp_ge_u32 s27, s29
	s_cselect_b32 s40, -1, 0
	s_cmp_ge_u32 s38, s28
	s_cselect_b32 s38, -1, 0
	s_cmp_eq_u32 s27, s29
	s_cselect_b32 s27, s38, s40
	s_cmp_lg_u32 s27, 0
	s_mov_b32 s27, 0
	s_cselect_b32 s31, s39, s31
	s_cselect_b32 s30, s37, s30
.LBB0_6:                                ;   in Loop: Header=BB0_4 Depth=1
	s_andn2_b32 vcc_lo, exec_lo, s27
	s_cbranch_vccnz .LBB0_8
; %bb.7:                                ;   in Loop: Header=BB0_4 Depth=1
	v_cvt_f32_u32_e32 v1, s28
	s_sub_i32 s30, 0, s28
	v_rcp_iflag_f32_e32 v1, v1
	v_mul_f32_e32 v1, 0x4f7ffffe, v1
	v_cvt_u32_f32_e32 v1, v1
	v_readfirstlane_b32 s27, v1
	s_mul_i32 s30, s30, s27
	s_mul_hi_u32 s30, s27, s30
	s_add_i32 s27, s27, s30
	s_mul_hi_u32 s27, s18, s27
	s_mul_i32 s30, s27, s28
	s_add_i32 s31, s27, 1
	s_sub_i32 s30, s18, s30
	s_sub_i32 s37, s30, s28
	s_cmp_ge_u32 s30, s28
	s_cselect_b32 s27, s31, s27
	s_cselect_b32 s30, s37, s30
	s_add_i32 s31, s27, 1
	s_cmp_ge_u32 s30, s28
	s_cselect_b32 s30, s31, s27
	s_mov_b32 s31, s26
.LBB0_8:                                ;   in Loop: Header=BB0_4 Depth=1
	s_load_dwordx2 s[38:39], s[22:23], 0x0
	s_mul_i32 s17, s28, s17
	s_mul_hi_u32 s27, s28, s16
	s_mul_i32 s37, s29, s16
	s_mul_i32 s29, s30, s29
	s_mul_hi_u32 s40, s30, s28
	s_mul_i32 s41, s31, s28
	s_add_i32 s17, s27, s17
	s_add_i32 s27, s40, s29
	s_mul_i32 s42, s30, s28
	s_add_i32 s17, s17, s37
	s_add_i32 s27, s27, s41
	s_sub_u32 s18, s18, s42
	s_subb_u32 s19, s19, s27
	s_mul_i32 s16, s28, s16
	s_waitcnt lgkmcnt(0)
	s_mul_i32 s19, s38, s19
	s_mul_hi_u32 s27, s38, s18
	s_add_i32 s19, s27, s19
	s_mul_i32 s27, s39, s18
	s_mul_i32 s18, s38, s18
	s_add_i32 s19, s19, s27
	s_add_u32 s36, s18, s36
	s_addc_u32 s35, s19, s35
	s_add_u32 s24, s24, 1
	s_addc_u32 s25, s25, 0
	s_add_u32 s22, s22, 8
	v_cmp_ge_u64_e64 s18, s[24:25], s[20:21]
	s_addc_u32 s23, s23, 0
	s_add_u32 s0, s0, 8
	s_addc_u32 s1, s1, 0
	s_and_b32 vcc_lo, exec_lo, s18
	s_cbranch_vccnz .LBB0_10
; %bb.9:                                ;   in Loop: Header=BB0_4 Depth=1
	s_mov_b64 s[18:19], s[30:31]
	s_branch .LBB0_4
.LBB0_10:
	v_cmp_lt_u64_e64 s0, s[6:7], s[16:17]
	s_mov_b64 s[18:19], 0
	s_and_b32 vcc_lo, exec_lo, s0
	s_cbranch_vccnz .LBB0_12
; %bb.11:
	v_cvt_f32_u32_e32 v1, s16
	s_sub_i32 s1, 0, s16
	v_rcp_iflag_f32_e32 v1, v1
	v_mul_f32_e32 v1, 0x4f7ffffe, v1
	v_cvt_u32_f32_e32 v1, v1
	v_readfirstlane_b32 s0, v1
	s_mul_i32 s1, s1, s0
	s_mul_hi_u32 s1, s0, s1
	s_add_i32 s0, s0, s1
	s_mul_hi_u32 s0, s6, s0
	s_mul_i32 s1, s0, s16
	s_sub_i32 s1, s6, s1
	s_add_i32 s6, s0, 1
	s_sub_i32 s7, s1, s16
	s_cmp_ge_u32 s1, s16
	s_cselect_b32 s0, s6, s0
	s_cselect_b32 s1, s7, s1
	s_add_i32 s6, s0, 1
	s_cmp_ge_u32 s1, s16
	s_cselect_b32 s18, s6, s0
.LBB0_12:
	s_lshl_b64 s[0:1], s[20:21], 3
	v_mul_u32_u24_e32 v1, 0x2aab, v0
	s_add_u32 s0, s2, s0
	s_addc_u32 s1, s3, s1
	s_load_dwordx2 s[0:1], s[0:1], 0x0
	v_lshrrev_b32_e32 v17, 16, v1
	v_mul_lo_u16 v3, v17, 6
	v_add_nc_u32_e32 v4, 0x70, v17
	v_add_nc_u32_e32 v9, 0xe0, v17
	;; [unrolled: 1-line block ×3, first 2 shown]
	v_mad_u64_u32 v[1:2], null, s8, v17, 0
	v_sub_nc_u16 v3, v0, v3
	v_add_nc_u32_e32 v10, 0x118, v17
	v_mul_lo_u32 v12, s8, v4
	v_mul_lo_u32 v9, s8, v9
	v_add_nc_u32_e32 v8, 56, v17
	v_and_b32_e32 v7, 0xffff, v3
	v_mul_lo_u32 v10, s8, v10
	s_waitcnt lgkmcnt(0)
	s_mul_i32 s1, s1, s18
	s_mul_hi_u32 s2, s0, s18
	v_add_co_u32 v5, s3, s34, v7
	s_mul_i32 s0, s0, s18
	v_add_co_ci_u32_e64 v6, null, s33, 0, s3
	s_add_i32 s1, s2, s1
	v_mad_u64_u32 v[3:4], null, s10, v7, 0
	s_add_u32 s2, s0, s36
	s_addc_u32 s3, s1, s35
	s_add_u32 s0, s34, 6
	s_addc_u32 s1, s33, 0
	v_cmp_gt_u64_e32 vcc_lo, s[14:15], v[5:6]
	v_mad_u64_u32 v[5:6], null, s8, v11, 0
	v_cmp_le_u64_e64 s6, s[0:1], s[14:15]
	v_mul_lo_u32 v8, s8, v8
	v_add_lshl_u32 v13, v3, v1, 2
	v_add_lshl_u32 v9, v3, v9, 2
	v_add_lshl_u32 v12, v3, v12, 2
	v_add_lshl_u32 v10, v3, v10, 2
	s_or_b32 s0, s6, vcc_lo
	v_add_lshl_u32 v14, v3, v5, 2
	v_cndmask_b32_e64 v13, -1, v13, s0
	v_cndmask_b32_e64 v9, -1, v9, s0
	v_add_lshl_u32 v8, v3, v8, 2
	s_lshl_b32 s1, s2, 2
	s_mov_b32 s15, 0x31014000
	s_mov_b32 s14, -2
	v_cndmask_b32_e64 v12, -1, v12, s0
	v_cndmask_b32_e64 v14, -1, v14, s0
	s_clause 0x1
	buffer_load_dword v13, v13, s[12:15], s1 offen
	buffer_load_dword v15, v9, s[12:15], s1 offen
	v_cndmask_b32_e64 v9, -1, v10, s0
	v_cndmask_b32_e64 v8, -1, v8, s0
	s_clause 0x3
	buffer_load_dword v10, v12, s[12:15], s1 offen
	buffer_load_dword v12, v14, s[12:15], s1 offen
	;; [unrolled: 1-line block ×4, first 2 shown]
	v_mad_u32_u24 v9, 0x90, v17, 0
	v_cmp_gt_u32_e64 s0, 0x120, v0
	v_mov_b32_e32 v8, v2
	v_mov_b32_e32 v2, v6
	v_lshlrev_b32_e32 v16, 2, v7
	v_lshl_add_u32 v6, v7, 2, v9
	s_waitcnt vmcnt(5)
	v_lshrrev_b32_e32 v19, 16, v13
	s_waitcnt vmcnt(3)
	v_add_f16_e32 v20, v10, v15
	s_waitcnt vmcnt(1)
	v_add_f16_sdwa v27, v12, v14 dst_sel:DWORD dst_unused:UNUSED_PAD src0_sel:WORD_1 src1_sel:WORD_1
	s_waitcnt vmcnt(0)
	v_lshrrev_b32_e32 v28, 16, v18
	v_add_f16_e32 v24, v12, v14
	v_sub_f16_sdwa v25, v12, v14 dst_sel:DWORD dst_unused:UNUSED_PAD src0_sel:WORD_1 src1_sel:WORD_1
	v_pk_add_f16 v26, v18, v12
	v_sub_f16_e32 v12, v12, v14
	v_fmac_f16_e32 v28, -0.5, v27
	v_pk_add_f16 v22, v13, v10
	v_add_f16_sdwa v23, v10, v15 dst_sel:DWORD dst_unused:UNUSED_PAD src0_sel:WORD_1 src1_sel:WORD_1
	v_fma_f16 v29, -0.5, v20, v13
	v_fma_f16 v13, -0.5, v24, v18
	v_pk_add_f16 v18, v26, v14
	v_fmamk_f16 v14, v12, 0x3aee, v28
	v_fmac_f16_e32 v28, 0xbaee, v12
	v_sub_f16_sdwa v21, v10, v15 dst_sel:DWORD dst_unused:UNUSED_PAD src0_sel:WORD_1 src1_sel:WORD_1
	v_sub_f16_e32 v10, v10, v15
	v_fmac_f16_e32 v19, -0.5, v23
	v_fmamk_f16 v12, v25, 0xbaee, v13
	v_fmac_f16_e32 v13, 0x3aee, v25
	v_mul_f16_e32 v23, 0xbaee, v14
	v_mul_f16_e32 v24, 0xbaee, v28
	v_mul_f16_e32 v25, 0.5, v14
	v_mul_f16_e32 v26, -0.5, v28
	v_pk_add_f16 v30, v22, v15
	v_fmamk_f16 v15, v21, 0xbaee, v29
	v_fmac_f16_e32 v29, 0x3aee, v21
	v_fmamk_f16 v22, v10, 0x3aee, v19
	v_fmac_f16_e32 v19, 0xbaee, v10
	v_fmac_f16_e32 v23, 0.5, v12
	v_fmac_f16_e32 v24, -0.5, v13
	v_fmac_f16_e32 v25, 0x3aee, v12
	v_fmac_f16_e32 v26, 0x3aee, v13
	v_pk_add_f16 v12, v30, v18
	v_add_f16_e32 v14, v15, v23
	v_add_f16_e32 v13, v29, v24
	;; [unrolled: 1-line block ×4, first 2 shown]
	v_sub_f16_e32 v23, v15, v23
	v_sub_f16_e32 v15, v29, v24
	;; [unrolled: 1-line block ×3, first 2 shown]
	v_pk_add_f16 v26, v30, v18 neg_lo:[0,1] neg_hi:[0,1]
	v_sub_f16_e32 v22, v22, v25
	v_pack_b32_f16 v10, v14, v20
	v_pack_b32_f16 v18, v13, v21
	;; [unrolled: 1-line block ×3, first 2 shown]
	v_lshrrev_b32_e32 v27, 16, v26
	v_pack_b32_f16 v19, v23, v22
	ds_write2_b32 v6, v12, v10 offset1:6
	ds_write2_b32 v6, v18, v26 offset0:12 offset1:18
	ds_write2_b32 v6, v19, v25 offset0:24 offset1:30
	s_waitcnt lgkmcnt(0)
	s_barrier
	buffer_gl0_inv
                                        ; implicit-def: $vgpr28
                                        ; implicit-def: $vgpr25
	s_and_saveexec_b32 s1, s0
	s_cbranch_execz .LBB0_14
; %bb.13:
	v_mul_i32_i24_e32 v6, 0xffffff88, v17
	v_add3_u32 v6, v9, v6, v16
	ds_read_b32 v14, v6 offset:1152
	ds_read_b32 v13, v6 offset:2304
	;; [unrolled: 1-line block ×6, first 2 shown]
	ds_read_b32 v12, v6
	s_waitcnt lgkmcnt(6)
	v_lshrrev_b32_e32 v20, 16, v14
	s_waitcnt lgkmcnt(5)
	v_lshrrev_b32_e32 v21, 16, v13
	s_waitcnt lgkmcnt(4)
	v_lshrrev_b32_e32 v27, 16, v26
	s_waitcnt lgkmcnt(3)
	v_lshrrev_b32_e32 v22, 16, v23
	s_waitcnt lgkmcnt(2)
	v_lshrrev_b32_e32 v24, 16, v15
	s_waitcnt lgkmcnt(1)
	v_lshrrev_b32_e32 v28, 16, v25
.LBB0_14:
	s_or_b32 exec_lo, exec_lo, s1
	v_mul_lo_u16 v6, v17, 43
	v_mad_u64_u32 v[9:10], null, s9, v17, v[8:9]
	v_mad_u64_u32 v[10:11], null, s9, v11, v[2:3]
	v_lshrrev_b16 v18, 8, v6
	v_mul_lo_u16 v6, v18, 6
	v_sub_nc_u16 v6, v17, v6
	v_and_b32_e32 v19, 0xff, v6
	v_mul_u32_u24_e32 v6, 6, v19
	v_lshlrev_b32_e32 v6, 2, v6
	s_clause 0x1
	global_load_dwordx4 v[29:32], v6, s[4:5]
	global_load_dwordx2 v[33:34], v6, s[4:5] offset:16
	v_mad_u64_u32 v[6:7], null, s11, v7, v[4:5]
	s_waitcnt vmcnt(0) lgkmcnt(0)
	s_barrier
	buffer_gl0_inv
	v_mul_f16_sdwa v2, v20, v29 dst_sel:DWORD dst_unused:UNUSED_PAD src0_sel:DWORD src1_sel:WORD_1
	v_mul_f16_sdwa v4, v14, v29 dst_sel:DWORD dst_unused:UNUSED_PAD src0_sel:DWORD src1_sel:WORD_1
	;; [unrolled: 1-line block ×8, first 2 shown]
	v_mul_f16_e32 v11, v26, v31
	v_mul_f16_sdwa v35, v27, v31 dst_sel:DWORD dst_unused:UNUSED_PAD src0_sel:DWORD src1_sel:WORD_1
	v_mul_f16_sdwa v26, v26, v31 dst_sel:DWORD dst_unused:UNUSED_PAD src0_sel:DWORD src1_sel:WORD_1
	v_mul_f16_e32 v36, v23, v32
	v_mul_f16_sdwa v37, v22, v32 dst_sel:DWORD dst_unused:UNUSED_PAD src0_sel:DWORD src1_sel:WORD_1
	v_mul_f16_sdwa v23, v23, v32 dst_sel:DWORD dst_unused:UNUSED_PAD src0_sel:DWORD src1_sel:WORD_1
	v_fmac_f16_e32 v2, v14, v29
	v_fma_f16 v4, v20, v29, -v4
	v_fmac_f16_e32 v7, v13, v30
	v_fma_f16 v8, v21, v30, -v8
	;; [unrolled: 2-line block ×4, first 2 shown]
	v_fma_f16 v13, v27, v31, -v26
	v_fma_f16 v14, v22, v32, -v23
	v_add_f16_e32 v21, v2, v40
	v_sub_f16_e32 v22, v4, v20
	v_add_f16_e32 v23, v7, v38
	v_sub_f16_e32 v24, v8, v15
	v_pack_b32_f16 v4, v36, v4
	v_pack_b32_f16 v20, v37, v20
	;; [unrolled: 1-line block ×4, first 2 shown]
	v_sub_f16_e32 v25, v14, v13
	v_sub_f16_e32 v2, v2, v40
	v_pk_add_f16 v4, v4, v20
	v_sub_f16_e32 v7, v7, v38
	v_pk_add_f16 v8, v8, v11
	v_pack_b32_f16 v11, v23, v13
	v_pack_b32_f16 v13, v21, v14
	v_add_f16_e32 v26, v25, v24
	v_sub_f16_e32 v27, v25, v24
	v_sub_f16_e32 v25, v22, v25
	v_sub_f16_e32 v20, v24, v22
	v_pk_add_f16 v11, v11, v13
	v_pk_add_f16 v13, v8, v4
	v_add_f16_e32 v22, v26, v22
	v_sub_f16_e32 v24, v4, v8
	v_sub_f16_sdwa v26, v8, v4 dst_sel:DWORD dst_unused:UNUSED_PAD src0_sel:WORD_1 src1_sel:WORD_1
	v_sub_f16_sdwa v4, v4, v11 dst_sel:DWORD dst_unused:UNUSED_PAD src0_sel:WORD_1 src1_sel:WORD_1
	;; [unrolled: 1-line block ×3, first 2 shown]
	v_pk_add_f16 v11, v11, v13
	v_sub_f16_e32 v15, v23, v21
	v_sub_f16_e32 v14, v7, v2
	v_mul_f16_e32 v27, 0x3846, v27
	v_mul_f16_e32 v29, 0xbb00, v20
	v_sub_f16_e32 v21, v21, v13
	v_sub_f16_e32 v23, v13, v23
	v_add_f16_e32 v30, v24, v7
	v_sub_f16_e32 v31, v24, v7
	v_pk_add_f16 v7, v12, v11
	v_mul_f16_e32 v28, 0xbb00, v14
	v_sub_f16_e32 v24, v2, v24
	v_fmamk_f16 v32, v25, 0xb574, v27
	v_fma_f16 v13, v20, 0xbb00, -v27
	v_fma_f16 v25, v25, 0x3574, -v29
	v_add_f16_e32 v2, v30, v2
	v_lshrrev_b32_e32 v12, 16, v11
	v_mul_f16_e32 v21, 0x3a52, v21
	v_mul_f16_e32 v4, 0x3a52, v4
	;; [unrolled: 1-line block ×5, first 2 shown]
	v_lshrrev_b32_e32 v20, 16, v7
	v_fma_f16 v28, v24, 0x3574, -v28
	v_fmac_f16_e32 v32, 0xb70e, v22
	v_fmac_f16_e32 v13, 0xb70e, v22
	;; [unrolled: 1-line block ×3, first 2 shown]
	v_fmamk_f16 v11, v11, 0xbcab, v7
	v_fmamk_f16 v22, v23, 0x2b26, v21
	v_fmamk_f16 v8, v8, 0x2b26, v4
	v_fma_f16 v23, v15, 0x39e0, -v27
	v_fma_f16 v27, v26, 0x39e0, -v29
	;; [unrolled: 1-line block ×4, first 2 shown]
	v_fmamk_f16 v21, v24, 0xb574, v30
	v_fma_f16 v29, v14, 0xbb00, -v30
	v_fmamk_f16 v12, v12, 0xbcab, v20
	v_fmac_f16_e32 v28, 0xb70e, v2
	v_add_f16_e32 v22, v22, v11
	v_add_f16_e32 v14, v23, v11
	;; [unrolled: 1-line block ×3, first 2 shown]
	v_fmac_f16_e32 v21, 0xb70e, v2
	v_fmac_f16_e32 v29, 0xb70e, v2
	v_add_f16_e32 v2, v8, v12
	v_add_f16_e32 v23, v27, v12
	;; [unrolled: 1-line block ×5, first 2 shown]
	v_sub_f16_e32 v12, v14, v13
	v_add_f16_e32 v13, v13, v14
	v_sub_f16_e32 v14, v15, v25
	v_sub_f16_e32 v15, v22, v32
	;; [unrolled: 1-line block ×4, first 2 shown]
	v_add_f16_e32 v26, v29, v23
	v_sub_f16_e32 v27, v23, v29
	v_add_f16_e32 v28, v28, v4
	v_add_f16_e32 v29, v21, v2
	s_and_saveexec_b32 s1, s0
	s_cbranch_execz .LBB0_16
; %bb.15:
	v_and_b32_e32 v2, 0xffff, v18
	v_perm_b32 v4, v24, v8, 0x5040100
	v_perm_b32 v18, v25, v11, 0x5040100
	;; [unrolled: 1-line block ×4, first 2 shown]
	v_mad_u32_u24 v2, v2, 42, v19
	v_perm_b32 v19, v26, v12, 0x5040100
	v_perm_b32 v23, v29, v15, 0x5040100
	v_mul_u32_u24_e32 v2, 24, v2
	v_add3_u32 v2, 0, v2, v16
	ds_write2_b32 v2, v7, v4 offset1:36
	ds_write2_b32 v2, v18, v19 offset0:72 offset1:108
	ds_write2_b32 v2, v21, v22 offset0:144 offset1:180
	ds_write_b32 v2, v23 offset:864
.LBB0_16:
	s_or_b32 exec_lo, exec_lo, s1
	v_cmp_gt_u32_e64 s0, 0xfc, v0
	s_waitcnt lgkmcnt(0)
	s_barrier
	buffer_gl0_inv
                                        ; implicit-def: $vgpr30
	s_and_saveexec_b32 s1, s0
	s_cbranch_execz .LBB0_18
; %bb.17:
	v_mul_u32_u24_e32 v0, 24, v17
	v_add3_u32 v0, 0, v0, v16
	v_add_nc_u32_e32 v2, 0x7e0, v0
	v_add_nc_u32_e32 v4, 0xfc0, v0
	ds_read2_b32 v[7:8], v0 offset1:252
	v_add_nc_u32_e32 v0, 0x17a0, v0
	ds_read2_b32 v[11:12], v2 offset1:252
	ds_read2_b32 v[13:14], v4 offset1:252
	ds_read2_b32 v[15:16], v0 offset1:252
	s_waitcnt lgkmcnt(3)
	v_lshrrev_b32_e32 v20, 16, v7
	v_lshrrev_b32_e32 v24, 16, v8
	s_waitcnt lgkmcnt(2)
	v_lshrrev_b32_e32 v25, 16, v11
	v_lshrrev_b32_e32 v26, 16, v12
	;; [unrolled: 3-line block ×4, first 2 shown]
.LBB0_18:
	s_or_b32 exec_lo, exec_lo, s1
	v_mul_lo_u16 v0, v17, 49
	v_mov_b32_e32 v4, v6
	v_mov_b32_e32 v2, v9
	;; [unrolled: 1-line block ×3, first 2 shown]
	v_add_nc_u32_e32 v23, 42, v17
	v_lshrrev_b16 v0, 11, v0
	v_lshlrev_b64 v[9:10], 2, v[3:4]
	v_lshlrev_b64 v[2:3], 2, v[1:2]
	v_add_nc_u32_e32 v22, 0x54, v17
	v_add_nc_u32_e32 v21, 0x7e, v17
	v_mul_lo_u16 v0, v0, 42
	s_and_b32 s1, s0, s6
	v_sub_nc_u16 v0, v17, v0
	v_and_b32_e32 v0, 0xff, v0
	v_mad_u64_u32 v[18:19], null, v0, 28, s[4:5]
	v_lshlrev_b64 v[0:1], 2, v[5:6]
	s_clause 0x1
	global_load_dwordx4 v[31:34], v[18:19], off offset:144
	global_load_dwordx3 v[35:37], v[18:19], off offset:160
	v_add_nc_u32_e32 v19, 0xd2, v17
	v_add_nc_u32_e32 v18, 0xfc, v17
	;; [unrolled: 1-line block ×3, first 2 shown]
	s_waitcnt vmcnt(1)
	v_mul_f16_sdwa v4, v24, v31 dst_sel:DWORD dst_unused:UNUSED_PAD src0_sel:DWORD src1_sel:WORD_1
	v_mul_f16_sdwa v5, v8, v31 dst_sel:DWORD dst_unused:UNUSED_PAD src0_sel:DWORD src1_sel:WORD_1
	;; [unrolled: 1-line block ×8, first 2 shown]
	s_waitcnt vmcnt(0)
	v_mul_f16_sdwa v43, v28, v35 dst_sel:DWORD dst_unused:UNUSED_PAD src0_sel:DWORD src1_sel:WORD_1
	v_mul_f16_sdwa v44, v14, v35 dst_sel:DWORD dst_unused:UNUSED_PAD src0_sel:DWORD src1_sel:WORD_1
	;; [unrolled: 1-line block ×6, first 2 shown]
	v_fmac_f16_e32 v4, v8, v31
	v_fma_f16 v5, v24, v31, -v5
	v_fmac_f16_e32 v6, v11, v32
	v_fma_f16 v8, v25, v32, -v38
	;; [unrolled: 2-line block ×7, first 2 shown]
	v_sub_f16_e32 v16, v7, v41
	v_sub_f16_e32 v12, v20, v12
	v_sub_f16_e32 v24, v6, v45
	v_sub_f16_e32 v14, v8, v14
	v_sub_f16_e32 v25, v4, v43
	v_sub_f16_e32 v13, v5, v13
	v_sub_f16_e32 v26, v39, v47
	v_sub_f16_e32 v15, v11, v15
	v_fma_f16 v7, v7, 2.0, -v16
	v_fma_f16 v20, v20, 2.0, -v12
	;; [unrolled: 1-line block ×8, first 2 shown]
	v_add_f16_e32 v14, v16, v14
	v_sub_f16_e32 v24, v12, v24
	v_add_f16_e32 v15, v25, v15
	v_sub_f16_e32 v26, v13, v26
	v_sub_f16_e32 v6, v7, v6
	;; [unrolled: 1-line block ×3, first 2 shown]
	v_fma_f16 v16, v16, 2.0, -v14
	v_fma_f16 v12, v12, 2.0, -v24
	v_sub_f16_e32 v27, v4, v27
	v_sub_f16_e32 v11, v5, v11
	v_fma_f16 v25, v25, 2.0, -v15
	v_fma_f16 v13, v13, 2.0, -v26
	v_fmamk_f16 v28, v15, 0x39a8, v14
	v_fmamk_f16 v29, v26, 0x39a8, v24
	v_fma_f16 v7, v7, 2.0, -v6
	v_fma_f16 v20, v20, 2.0, -v8
	;; [unrolled: 1-line block ×4, first 2 shown]
	v_fmamk_f16 v30, v25, 0xb9a8, v16
	v_fmamk_f16 v31, v13, 0xb9a8, v12
	v_add_f16_e32 v11, v6, v11
	v_sub_f16_e32 v27, v8, v27
	v_fmac_f16_e32 v28, 0x39a8, v26
	v_fmac_f16_e32 v29, 0xb9a8, v15
	v_sub_f16_e32 v15, v7, v4
	v_sub_f16_e32 v5, v20, v5
	v_fmac_f16_e32 v30, 0x39a8, v13
	v_fmac_f16_e32 v31, 0xb9a8, v25
	v_fma_f16 v6, v6, 2.0, -v11
	v_fma_f16 v8, v8, 2.0, -v27
	;; [unrolled: 1-line block ×8, first 2 shown]
	v_perm_b32 v4, v27, v11, 0x5040100
	v_perm_b32 v11, v8, v6, 0x5040100
	;; [unrolled: 1-line block ×8, first 2 shown]
	s_and_saveexec_b32 s4, s1
	s_cbranch_execz .LBB0_20
; %bb.19:
	v_mad_u64_u32 v[14:15], null, s8, v23, 0
	v_mad_u64_u32 v[24:25], null, s8, v22, 0
	s_lshl_b64 s[10:11], s[2:3], 2
	v_mad_u64_u32 v[26:27], null, s8, v21, 0
	s_add_u32 s1, s12, s10
	v_mad_u64_u32 v[15:16], null, s9, v23, v[15:16]
	v_mov_b32_e32 v16, v25
	s_addc_u32 s5, s13, s11
	v_add_co_u32 v20, s1, s1, v9
	v_add_co_ci_u32_e64 v35, s1, s5, v10, s1
	v_mad_u64_u32 v[28:29], null, s9, v22, v[16:17]
	v_mad_u64_u32 v[31:32], null, s8, v19, 0
	v_add_co_u32 v29, s1, v20, v2
	v_lshlrev_b64 v[14:15], 2, v[14:15]
	v_mov_b32_e32 v16, v27
	v_add_co_ci_u32_e64 v30, s1, v35, v3, s1
	v_mov_b32_e32 v25, v28
	v_mad_u64_u32 v[27:28], null, s9, v21, v[16:17]
	v_mov_b32_e32 v16, v32
	global_store_dword v[29:30], v13, off
	v_add_co_u32 v14, s1, v20, v14
	v_lshlrev_b64 v[24:25], 2, v[24:25]
	v_mad_u64_u32 v[28:29], null, s8, v18, 0
	v_add_co_ci_u32_e64 v15, s1, v35, v15, s1
	v_mad_u64_u32 v[32:33], null, s9, v19, v[16:17]
	v_mad_u64_u32 v[33:34], null, s8, v17, 0
	v_add_co_u32 v24, s1, v20, v24
	global_store_dword v[14:15], v12, off
	v_lshlrev_b64 v[15:16], 2, v[26:27]
	v_add_co_ci_u32_e64 v25, s1, v35, v25, s1
	v_mov_b32_e32 v14, v29
	global_store_dword v[24:25], v11, off
	v_mad_u64_u32 v[24:25], null, s9, v18, v[14:15]
	v_mov_b32_e32 v14, v34
	v_add_co_u32 v15, s1, v20, v15
	v_add_co_ci_u32_e64 v16, s1, v35, v16, s1
	v_add_co_u32 v30, s1, v20, v0
	v_mad_u64_u32 v[25:26], null, s9, v17, v[14:15]
	v_lshlrev_b64 v[26:27], 2, v[31:32]
	v_mov_b32_e32 v29, v24
	v_add_co_ci_u32_e64 v31, s1, v35, v1, s1
	v_mov_b32_e32 v34, v25
	v_lshlrev_b64 v[28:29], 2, v[28:29]
	v_add_co_u32 v24, s1, v20, v26
	v_add_co_ci_u32_e64 v25, s1, v35, v27, s1
	v_lshlrev_b64 v[26:27], 2, v[33:34]
	v_add_co_u32 v28, s1, v20, v28
	v_add_co_ci_u32_e64 v29, s1, v35, v29, s1
	v_add_co_u32 v26, s1, v20, v26
	v_add_co_ci_u32_e64 v27, s1, v35, v27, s1
	global_store_dword v[15:16], v6, off
	global_store_dword v[30:31], v7, off
	;; [unrolled: 1-line block ×5, first 2 shown]
.LBB0_20:
	s_or_b32 exec_lo, exec_lo, s4
	s_xor_b32 s1, s6, -1
	s_and_b32 s0, s0, vcc_lo
	s_and_b32 s0, s1, s0
	s_and_saveexec_b32 s1, s0
	s_cbranch_execz .LBB0_22
; %bb.21:
	v_mad_u64_u32 v[14:15], null, s8, v23, 0
	v_mad_u64_u32 v[24:25], null, s8, v22, 0
	s_lshl_b64 s[0:1], s[2:3], 2
	v_mad_u64_u32 v[26:27], null, s8, v21, 0
	s_add_u32 s0, s12, s0
	v_mad_u64_u32 v[15:16], null, s9, v23, v[15:16]
	v_mov_b32_e32 v16, v25
	s_addc_u32 s1, s13, s1
	v_add_co_u32 v28, vcc_lo, s0, v9
	v_add_co_ci_u32_e32 v29, vcc_lo, s1, v10, vcc_lo
	v_mad_u64_u32 v[9:10], null, s9, v22, v[16:17]
	v_add_co_u32 v2, vcc_lo, v28, v2
	v_lshlrev_b64 v[14:15], 2, v[14:15]
	v_add_co_ci_u32_e32 v3, vcc_lo, v29, v3, vcc_lo
	v_mad_u64_u32 v[22:23], null, s8, v19, 0
	v_mov_b32_e32 v10, v27
	global_store_dword v[2:3], v13, off
	v_mov_b32_e32 v25, v9
	v_add_co_u32 v2, vcc_lo, v28, v14
	v_mad_u64_u32 v[9:10], null, s9, v21, v[10:11]
	v_add_co_ci_u32_e32 v3, vcc_lo, v29, v15, vcc_lo
	v_mad_u64_u32 v[15:16], null, s8, v18, 0
	v_mov_b32_e32 v10, v23
	v_lshlrev_b64 v[13:14], 2, v[24:25]
	v_mov_b32_e32 v27, v9
	global_store_dword v[2:3], v12, off
	v_mad_u64_u32 v[19:20], null, s9, v19, v[10:11]
	v_mad_u64_u32 v[9:10], null, s8, v17, 0
	v_mov_b32_e32 v2, v16
	v_add_co_u32 v13, vcc_lo, v28, v13
	v_add_co_ci_u32_e32 v14, vcc_lo, v29, v14, vcc_lo
	v_mad_u64_u32 v[2:3], null, s9, v18, v[2:3]
	v_mov_b32_e32 v3, v10
	global_store_dword v[13:14], v11, off
	v_lshlrev_b64 v[11:12], 2, v[26:27]
	v_mov_b32_e32 v23, v19
	v_mad_u64_u32 v[13:14], null, s9, v17, v[3:4]
	v_mov_b32_e32 v16, v2
	v_add_co_u32 v11, vcc_lo, v28, v11
	v_lshlrev_b64 v[17:18], 2, v[22:23]
	v_add_co_ci_u32_e32 v12, vcc_lo, v29, v12, vcc_lo
	v_mov_b32_e32 v10, v13
	v_add_co_u32 v0, vcc_lo, v28, v0
	v_lshlrev_b64 v[2:3], 2, v[15:16]
	v_add_co_ci_u32_e32 v1, vcc_lo, v29, v1, vcc_lo
	v_add_co_u32 v13, vcc_lo, v28, v17
	v_lshlrev_b64 v[9:10], 2, v[9:10]
	v_add_co_ci_u32_e32 v14, vcc_lo, v29, v18, vcc_lo
	v_add_co_u32 v2, vcc_lo, v28, v2
	v_add_co_ci_u32_e32 v3, vcc_lo, v29, v3, vcc_lo
	v_add_co_u32 v9, vcc_lo, v28, v9
	v_add_co_ci_u32_e32 v10, vcc_lo, v29, v10, vcc_lo
	global_store_dword v[11:12], v6, off
	global_store_dword v[0:1], v7, off
	global_store_dword v[13:14], v8, off
	global_store_dword v[2:3], v4, off
	global_store_dword v[9:10], v5, off
.LBB0_22:
	s_endpgm
	.section	.rodata,"a",@progbits
	.p2align	6, 0x0
	.amdhsa_kernel fft_rtc_back_len336_factors_6_7_8_wgs_336_tpt_56_half_ip_CI_sbcc_dirReg_intrinsicRead
		.amdhsa_group_segment_fixed_size 0
		.amdhsa_private_segment_fixed_size 0
		.amdhsa_kernarg_size 96
		.amdhsa_user_sgpr_count 6
		.amdhsa_user_sgpr_private_segment_buffer 1
		.amdhsa_user_sgpr_dispatch_ptr 0
		.amdhsa_user_sgpr_queue_ptr 0
		.amdhsa_user_sgpr_kernarg_segment_ptr 1
		.amdhsa_user_sgpr_dispatch_id 0
		.amdhsa_user_sgpr_flat_scratch_init 0
		.amdhsa_user_sgpr_private_segment_size 0
		.amdhsa_wavefront_size32 1
		.amdhsa_uses_dynamic_stack 0
		.amdhsa_system_sgpr_private_segment_wavefront_offset 0
		.amdhsa_system_sgpr_workgroup_id_x 1
		.amdhsa_system_sgpr_workgroup_id_y 0
		.amdhsa_system_sgpr_workgroup_id_z 0
		.amdhsa_system_sgpr_workgroup_info 0
		.amdhsa_system_vgpr_workitem_id 0
		.amdhsa_next_free_vgpr 49
		.amdhsa_next_free_sgpr 44
		.amdhsa_reserve_vcc 1
		.amdhsa_reserve_flat_scratch 0
		.amdhsa_float_round_mode_32 0
		.amdhsa_float_round_mode_16_64 0
		.amdhsa_float_denorm_mode_32 3
		.amdhsa_float_denorm_mode_16_64 3
		.amdhsa_dx10_clamp 1
		.amdhsa_ieee_mode 1
		.amdhsa_fp16_overflow 0
		.amdhsa_workgroup_processor_mode 1
		.amdhsa_memory_ordered 1
		.amdhsa_forward_progress 0
		.amdhsa_shared_vgpr_count 0
		.amdhsa_exception_fp_ieee_invalid_op 0
		.amdhsa_exception_fp_denorm_src 0
		.amdhsa_exception_fp_ieee_div_zero 0
		.amdhsa_exception_fp_ieee_overflow 0
		.amdhsa_exception_fp_ieee_underflow 0
		.amdhsa_exception_fp_ieee_inexact 0
		.amdhsa_exception_int_div_zero 0
	.end_amdhsa_kernel
	.text
.Lfunc_end0:
	.size	fft_rtc_back_len336_factors_6_7_8_wgs_336_tpt_56_half_ip_CI_sbcc_dirReg_intrinsicRead, .Lfunc_end0-fft_rtc_back_len336_factors_6_7_8_wgs_336_tpt_56_half_ip_CI_sbcc_dirReg_intrinsicRead
                                        ; -- End function
	.section	.AMDGPU.csdata,"",@progbits
; Kernel info:
; codeLenInByte = 5104
; NumSgprs: 46
; NumVgprs: 49
; ScratchSize: 0
; MemoryBound: 0
; FloatMode: 240
; IeeeMode: 1
; LDSByteSize: 0 bytes/workgroup (compile time only)
; SGPRBlocks: 5
; VGPRBlocks: 6
; NumSGPRsForWavesPerEU: 46
; NumVGPRsForWavesPerEU: 49
; Occupancy: 14
; WaveLimiterHint : 1
; COMPUTE_PGM_RSRC2:SCRATCH_EN: 0
; COMPUTE_PGM_RSRC2:USER_SGPR: 6
; COMPUTE_PGM_RSRC2:TRAP_HANDLER: 0
; COMPUTE_PGM_RSRC2:TGID_X_EN: 1
; COMPUTE_PGM_RSRC2:TGID_Y_EN: 0
; COMPUTE_PGM_RSRC2:TGID_Z_EN: 0
; COMPUTE_PGM_RSRC2:TIDIG_COMP_CNT: 0
	.text
	.p2alignl 6, 3214868480
	.fill 48, 4, 3214868480
	.type	__hip_cuid_c3616d683adf42ab,@object ; @__hip_cuid_c3616d683adf42ab
	.section	.bss,"aw",@nobits
	.globl	__hip_cuid_c3616d683adf42ab
__hip_cuid_c3616d683adf42ab:
	.byte	0                               ; 0x0
	.size	__hip_cuid_c3616d683adf42ab, 1

	.ident	"AMD clang version 19.0.0git (https://github.com/RadeonOpenCompute/llvm-project roc-6.4.0 25133 c7fe45cf4b819c5991fe208aaa96edf142730f1d)"
	.section	".note.GNU-stack","",@progbits
	.addrsig
	.addrsig_sym __hip_cuid_c3616d683adf42ab
	.amdgpu_metadata
---
amdhsa.kernels:
  - .args:
      - .actual_access:  read_only
        .address_space:  global
        .offset:         0
        .size:           8
        .value_kind:     global_buffer
      - .address_space:  global
        .offset:         8
        .size:           8
        .value_kind:     global_buffer
      - .offset:         16
        .size:           8
        .value_kind:     by_value
      - .actual_access:  read_only
        .address_space:  global
        .offset:         24
        .size:           8
        .value_kind:     global_buffer
      - .actual_access:  read_only
        .address_space:  global
        .offset:         32
        .size:           8
        .value_kind:     global_buffer
      - .offset:         40
        .size:           8
        .value_kind:     by_value
      - .actual_access:  read_only
        .address_space:  global
        .offset:         48
        .size:           8
        .value_kind:     global_buffer
      - .actual_access:  read_only
        .address_space:  global
        .offset:         56
        .size:           8
        .value_kind:     global_buffer
      - .offset:         64
        .size:           4
        .value_kind:     by_value
      - .actual_access:  read_only
        .address_space:  global
        .offset:         72
        .size:           8
        .value_kind:     global_buffer
      - .actual_access:  read_only
        .address_space:  global
        .offset:         80
        .size:           8
        .value_kind:     global_buffer
      - .address_space:  global
        .offset:         88
        .size:           8
        .value_kind:     global_buffer
    .group_segment_fixed_size: 0
    .kernarg_segment_align: 8
    .kernarg_segment_size: 96
    .language:       OpenCL C
    .language_version:
      - 2
      - 0
    .max_flat_workgroup_size: 336
    .name:           fft_rtc_back_len336_factors_6_7_8_wgs_336_tpt_56_half_ip_CI_sbcc_dirReg_intrinsicRead
    .private_segment_fixed_size: 0
    .sgpr_count:     46
    .sgpr_spill_count: 0
    .symbol:         fft_rtc_back_len336_factors_6_7_8_wgs_336_tpt_56_half_ip_CI_sbcc_dirReg_intrinsicRead.kd
    .uniform_work_group_size: 1
    .uses_dynamic_stack: false
    .vgpr_count:     49
    .vgpr_spill_count: 0
    .wavefront_size: 32
    .workgroup_processor_mode: 1
amdhsa.target:   amdgcn-amd-amdhsa--gfx1030
amdhsa.version:
  - 1
  - 2
...

	.end_amdgpu_metadata
